;; amdgpu-corpus repo=llvm/llvm-project kind=harvested arch=n/a opt=n/a
// NOTE: Assertions have been autogenerated by utils/update_mc_test_checks.py UTC_ARGS: --version 6
// RUN: llvm-mc -triple=amdgcn -mcpu=gfx1310 -show-encoding < %s | FileCheck -check-prefix=GFX13 %s
// RUN: llvm-mc -triple=amdgcn -mcpu=gfx1310 -show-encoding < %s | %extract-encodings | llvm-mc -triple=amdgcn -mcpu=gfx1310 -disassemble -show-encoding | FileCheck -check-prefix=GFX13 %s

export mrt0 v0, off, off, off
// GFX13: export mrt0, v0, off, off, off          ; encoding: [0x01,0x00,0x00,0xf8,0x00,0x00,0x00,0x00]

export mrt7 v0, off, off, off
// GFX13: export mrt7, v0, off, off, off          ; encoding: [0x71,0x00,0x00,0xf8,0x00,0x00,0x00,0x00]

export mrtz v0, off, off, off
// GFX13: export mrtz, v0, off, off, off          ; encoding: [0x81,0x00,0x00,0xf8,0x00,0x00,0x00,0x00]

export pos0 v0, off, off, off
// GFX13: export pos0, v0, off, off, off          ; encoding: [0xc1,0x00,0x00,0xf8,0x00,0x00,0x00,0x00]

export pos4 v0, off, off, off
// GFX13: export pos4, v0, off, off, off          ; encoding: [0x01,0x01,0x00,0xf8,0x00,0x00,0x00,0x00]

export prim v0, off, off, off
// GFX13: export prim, v0, off, off, off          ; encoding: [0x41,0x01,0x00,0xf8,0x00,0x00,0x00,0x00]

export dual_src_blend0 v0, off, off, off
// GFX13: export dual_src_blend0, v0, off, off, off ; encoding: [0x51,0x01,0x00,0xf8,0x00,0x00,0x00,0x00]

export dual_src_blend1 v0, off, off, off
// GFX13: export dual_src_blend1, v0, off, off, off ; encoding: [0x61,0x01,0x00,0xf8,0x00,0x00,0x00,0x00]

export param0 v0, off, off, off
// GFX13: export param0, v0, off, off, off        ; encoding: [0x01,0x02,0x00,0xf8,0x00,0x00,0x00,0x00]

export param31 v0, off, off, off
// GFX13: export param31, v0, off, off, off       ; encoding: [0xf1,0x03,0x00,0xf8,0x00,0x00,0x00,0x00]

export mrt0 v4, off, off, off
// GFX13: export mrt0, v4, off, off, off          ; encoding: [0x01,0x00,0x00,0xf8,0x04,0x00,0x00,0x00]

export mrt0 off, v3, off, off
// GFX13: export mrt0, off, v3, off, off          ; encoding: [0x02,0x00,0x00,0xf8,0x00,0x03,0x00,0x00]

export mrt0 off, off, v2, off
// GFX13: export mrt0, off, off, v2, off          ; encoding: [0x04,0x00,0x00,0xf8,0x00,0x00,0x02,0x00]

export mrt0 off, off, off, v1
// GFX13: export mrt0, off, off, off, v1          ; encoding: [0x08,0x00,0x00,0xf8,0x00,0x00,0x00,0x01]

export mrt0 v4, v3, off, off
// GFX13: export mrt0, v4, v3, off, off           ; encoding: [0x03,0x00,0x00,0xf8,0x04,0x03,0x00,0x00]

export mrt0 v4, off, v2, off
// GFX13: export mrt0, v4, off, v2, off           ; encoding: [0x05,0x00,0x00,0xf8,0x04,0x00,0x02,0x00]

export mrt0 v4, off, off, v1
// GFX13: export mrt0, v4, off, off, v1           ; encoding: [0x09,0x00,0x00,0xf8,0x04,0x00,0x00,0x01]

export mrt0 v4, v3, v2, v1
// GFX13: export mrt0, v4, v3, v2, v1             ; encoding: [0x0f,0x00,0x00,0xf8,0x04,0x03,0x02,0x01]

export mrt0 v4, v3, v2, v1 row_en
// GFX13: export mrt0, v4, v3, v2, v1 row_en      ; encoding: [0x0f,0x20,0x00,0xf8,0x04,0x03,0x02,0x01]

export mrt0 v4, v3, v2, v1 done
// GFX13: export mrt0, v4, v3, v2, v1 done        ; encoding: [0x0f,0x08,0x00,0xf8,0x04,0x03,0x02,0x01]

export mrt0 v4, v3, v2, v1 done row_en
// GFX13: export mrt0, v4, v3, v2, v1 done row_en ; encoding: [0x0f,0x28,0x00,0xf8,0x04,0x03,0x02,0x01]
